;; amdgpu-corpus repo=ROCm/rocFFT kind=compiled arch=gfx950 opt=O3
	.text
	.amdgcn_target "amdgcn-amd-amdhsa--gfx950"
	.amdhsa_code_object_version 6
	.protected	fft_rtc_fwd_len112_factors_4_7_4_wgs_448_tpt_28_sp_op_CI_CI_sbrc_xy_z_unaligned ; -- Begin function fft_rtc_fwd_len112_factors_4_7_4_wgs_448_tpt_28_sp_op_CI_CI_sbrc_xy_z_unaligned
	.globl	fft_rtc_fwd_len112_factors_4_7_4_wgs_448_tpt_28_sp_op_CI_CI_sbrc_xy_z_unaligned
	.p2align	8
	.type	fft_rtc_fwd_len112_factors_4_7_4_wgs_448_tpt_28_sp_op_CI_CI_sbrc_xy_z_unaligned,@function
fft_rtc_fwd_len112_factors_4_7_4_wgs_448_tpt_28_sp_op_CI_CI_sbrc_xy_z_unaligned: ; @fft_rtc_fwd_len112_factors_4_7_4_wgs_448_tpt_28_sp_op_CI_CI_sbrc_xy_z_unaligned
; %bb.0:
	s_load_dwordx4 s[8:11], s[0:1], 0x10
	s_load_dwordx2 s[16:17], s[0:1], 0x20
	s_waitcnt lgkmcnt(0)
	s_load_dwordx4 s[4:7], s[8:9], 0x8
	s_mov_b64 s[8:9], 0
	s_load_dwordx4 s[12:15], s[10:11], 0x0
	s_load_dwordx2 s[20:21], s[10:11], 0x10
	s_waitcnt lgkmcnt(0)
	s_add_i32 s3, s6, -1
	s_lshr_b32 s3, s3, 4
	s_add_i32 s3, s3, 1
	s_mul_i32 s18, s3, s4
	v_cvt_f32_u32_e32 v1, s18
	s_sub_i32 s7, 0, s18
	s_mov_b32 s3, 0
	s_mov_b32 s19, s3
	v_rcp_iflag_f32_e32 v1, v1
	v_mov_b64_e32 v[2:3], s[4:5]
	v_mul_f32_e32 v1, 0x4f7ffffe, v1
	v_cvt_u32_f32_e32 v1, v1
	s_nop 0
	v_readfirstlane_b32 s9, v1
	s_mul_i32 s7, s7, s9
	s_mul_hi_u32 s7, s9, s7
	s_add_i32 s9, s9, s7
	s_mul_hi_u32 s7, s2, s9
	s_mul_i32 s9, s7, s18
	s_sub_i32 s9, s2, s9
	s_add_i32 s15, s7, 1
	s_sub_i32 s21, s9, s18
	s_cmp_ge_u32 s9, s18
	s_cselect_b32 s7, s15, s7
	s_cselect_b32 s9, s21, s9
	s_add_i32 s15, s7, 1
	s_cmp_ge_u32 s9, s18
	s_cselect_b32 s7, s15, s7
	s_mul_i32 s9, s7, s18
	v_cvt_f32_u32_e32 v1, s4
	s_sub_i32 s18, s2, s9
	v_cmp_lt_u64_e32 vcc, s[18:19], v[2:3]
	s_cbranch_vccnz .LBB0_2
; %bb.1:
	v_rcp_iflag_f32_e32 v2, v1
	s_sub_i32 s8, 0, s4
	v_mul_f32_e32 v2, 0x4f7ffffe, v2
	v_cvt_u32_f32_e32 v2, v2
	s_nop 0
	v_readfirstlane_b32 s9, v2
	s_mul_i32 s8, s8, s9
	s_mul_hi_u32 s8, s9, s8
	s_add_i32 s9, s9, s8
	s_mul_hi_u32 s8, s18, s9
	s_mul_i32 s15, s8, s4
	s_sub_i32 s15, s18, s15
	s_add_i32 s9, s8, 1
	s_sub_i32 s18, s15, s4
	s_cmp_ge_u32 s15, s4
	s_cselect_b32 s8, s9, s8
	s_cselect_b32 s15, s18, s15
	s_add_i32 s9, s8, 1
	s_cmp_ge_u32 s15, s4
	s_cselect_b32 s8, s9, s8
.LBB0_2:
	s_load_dwordx2 s[22:23], s[0:1], 0x58
	v_mov_b64_e32 v[2:3], s[4:5]
	v_cmp_lt_u64_e32 vcc, s[2:3], v[2:3]
	s_cbranch_vccnz .LBB0_4
; %bb.3:
	v_rcp_iflag_f32_e32 v1, v1
	s_sub_i32 s3, 0, s4
	v_mul_f32_e32 v1, 0x4f7ffffe, v1
	v_cvt_u32_f32_e32 v1, v1
	s_nop 0
	v_readfirstlane_b32 s5, v1
	s_mul_i32 s3, s3, s5
	s_mul_hi_u32 s3, s5, s3
	s_add_i32 s5, s5, s3
	s_mul_hi_u32 s3, s2, s5
	s_mul_i32 s3, s3, s4
	s_sub_i32 s2, s2, s3
	s_sub_i32 s3, s2, s4
	s_cmp_ge_u32 s2, s4
	s_cselect_b32 s2, s3, s2
	s_sub_i32 s3, s2, s4
	s_cmp_ge_u32 s2, s4
	s_cselect_b32 s2, s3, s2
.LBB0_4:
	s_load_dwordx2 s[4:5], s[0:1], 0x8
	s_lshl_b32 s3, s8, 4
	s_mul_i32 s9, s2, s14
	s_mul_i32 s8, s3, s20
	s_add_i32 s21, s9, s8
	s_waitcnt lgkmcnt(0)
	s_lshl_b64 s[4:5], s[4:5], 3
	s_add_u32 s18, s10, s4
	s_addc_u32 s19, s11, s5
	s_load_dwordx2 s[24:25], s[18:19], 0x0
	s_load_dwordx4 s[8:11], s[16:17], 0x0
	s_load_dwordx2 s[14:15], s[16:17], 0x10
	v_mul_u32_u24_e32 v1, 0x24a, v0
	v_lshrrev_b32_e32 v2, 16, v1
	s_waitcnt lgkmcnt(0)
	s_mul_i32 s11, s25, s7
	s_mul_hi_u32 s15, s24, s7
	s_mul_i32 s18, s24, s7
	s_add_i32 s15, s15, s11
	s_add_u32 s24, s18, s21
	s_addc_u32 s25, s15, 0
	s_add_u32 s4, s16, s4
	s_addc_u32 s5, s17, s5
	s_load_dwordx2 s[16:17], s[4:5], 0x0
	s_add_i32 s4, s3, 16
	s_cmp_le_u32 s4, s6
	s_cselect_b64 s[18:19], -1, 0
	v_mul_lo_u16_e32 v1, 0x70, v2
	v_sub_u16_e32 v3, v0, v1
	s_mov_b64 s[4:5], -1
	s_and_b64 vcc, exec, s[18:19]
	s_cbranch_vccnz .LBB0_18
; %bb.5:
	v_or_b32_e32 v10, s3, v2
	v_cmp_gt_u32_e32 vcc, s6, v10
	s_and_saveexec_b64 s[26:27], vcc
	s_cbranch_execz .LBB0_17
; %bb.6:
	v_mad_u64_u32 v[4:5], s[4:5], s12, v3, 0
	v_mov_b32_e32 v6, v5
	v_mad_u64_u32 v[6:7], s[4:5], s13, v3, v[6:7]
	s_lshl_b64 s[4:5], s[24:25], 3
	v_add_u32_e32 v1, 4, v10
	s_add_u32 s4, s22, s4
	v_max_u32_e32 v1, s6, v1
	v_mov_b32_e32 v5, v6
	s_addc_u32 s5, s23, s5
	v_xad_u32 v1, v2, -1, v1
	v_lshl_add_u64 v[4:5], v[4:5], 3, s[4:5]
	v_subrev_u32_e32 v6, s3, v1
	s_movk_i32 s4, 0xb3
	v_cmp_lt_u32_e32 vcc, s4, v6
	s_mov_b64 s[4:5], 0
                                        ; implicit-def: $vgpr1
                                        ; implicit-def: $vgpr7
                                        ; implicit-def: $sgpr11
	s_and_saveexec_b64 s[28:29], vcc
	s_xor_b64 s[28:29], exec, s[28:29]
	s_cbranch_execnz .LBB0_9
; %bb.7:
	s_or_saveexec_b64 s[28:29], s[28:29]
	v_mov_b32_e32 v8, s11
	s_xor_b64 exec, exec, s[28:29]
	s_cbranch_execnz .LBB0_14
.LBB0_8:
	s_or_b64 exec, exec, s[28:29]
	s_and_b64 exec, exec, s[4:5]
	s_cbranch_execnz .LBB0_15
	s_branch .LBB0_17
.LBB0_9:
	v_mul_u32_u24_e32 v1, 0x380, v2
	v_lshlrev_b32_e32 v7, 3, v3
	v_lshrrev_b32_e32 v6, 2, v6
	v_add3_u32 v8, 0, v1, v7
	s_movk_i32 s4, 0xe00
	v_mul_hi_u32 v1, v6, s4
	v_mad_u64_u32 v[12:13], s[4:5], v6, s4, v[8:9]
	v_cmp_ne_u32_e32 vcc, 0, v1
	v_cmp_lt_u32_e64 s[4:5], v12, v8
	v_add_u32_e32 v1, 4, v8
	v_add_u32_e32 v8, 4, v12
	s_or_b64 s[30:31], s[4:5], vcc
	v_cmp_lt_u32_e64 s[4:5], v8, v1
	s_lshl_b32 s11, s20, 2
	s_or_b64 s[34:35], s[4:5], vcc
	s_sub_i32 s33, 0, s11
	s_cmp_gt_i32 s11, -1
	s_cselect_b64 s[4:5], -1, 0
	v_cndmask_b32_e64 v8, 0, -1, s[4:5]
	s_and_b64 s[4:5], s[4:5], exec
	s_cselect_b32 s4, s11, s33
	v_mul_lo_u32 v1, v2, s20
	v_mul_hi_u32 v9, s4, v6
	v_cmp_ne_u32_e32 vcc, 0, v9
	v_mul_lo_u32 v9, s4, v6
	v_xor_b32_e32 v1, v1, v8
	v_cmp_gt_u32_e64 s[4:5], v9, v1
	s_or_b64 s[4:5], s[4:5], vcc
	s_or_b64 s[30:31], s[30:31], s[34:35]
	s_or_b64 s[4:5], s[30:31], s[4:5]
	s_movk_i32 s15, 0x380
	s_mov_b32 s21, 0
	s_mov_b64 s[30:31], -1
	s_xor_b64 s[34:35], s[4:5], -1
	v_mov_b32_e32 v1, 0
	s_and_saveexec_b64 s[4:5], s[34:35]
	s_cbranch_execz .LBB0_13
; %bb.10:
	v_add_u32_e32 v11, 1, v6
	v_and_b32_e32 v12, 0x7ffffffe, v11
	v_lshl_add_u32 v6, v3, 3, 0
	v_mov_b32_e32 v1, v2
	s_mov_b32 s33, s20
	s_mov_b32 s34, 4
	s_mov_b64 s[30:31], 0
	v_mov_b32_e32 v9, 0
	v_mov_b32_e32 v13, v12
.LBB0_11:                               ; =>This Inner Loop Header: Depth=1
	v_add_u32_e32 v22, s21, v2
	v_add_u32_e32 v23, s34, v1
	v_mul_lo_u32 v8, v22, s20
	v_mov_b32_e32 v15, v9
	v_mul_lo_u32 v14, v23, s33
	v_lshl_add_u64 v[16:17], v[8:9], 3, v[4:5]
	v_lshl_add_u64 v[14:15], v[14:15], 3, v[4:5]
	global_load_dwordx2 v[18:19], v[16:17], off
	global_load_dwordx2 v[20:21], v[14:15], off
	v_add_u32_e32 v13, -2, v13
	s_add_i32 s21, s21, 8
	s_add_i32 s34, s34, 8
	v_cmp_eq_u32_e32 vcc, 0, v13
	v_mad_u64_u32 v[14:15], s[36:37], v22, s15, v[6:7]
	s_or_b64 s[30:31], vcc, s[30:31]
	v_mad_u64_u32 v[16:17], s[36:37], v23, s15, v[6:7]
	s_waitcnt vmcnt(1)
	ds_write_b32 v14, v18
	s_waitcnt vmcnt(0)
	ds_write_b32 v16, v20
	ds_write_b32 v14, v19 offset:4
	ds_write_b32 v16, v21 offset:4
	s_andn2_b64 exec, exec, s[30:31]
	s_cbranch_execnz .LBB0_11
; %bb.12:
	s_or_b64 exec, exec, s[30:31]
	v_cmp_ne_u32_e32 vcc, v11, v12
	v_lshlrev_b32_e32 v1, 2, v12
	s_orn2_b64 s[30:31], vcc, exec
.LBB0_13:
	s_or_b64 exec, exec, s[4:5]
	s_and_b64 s[4:5], s[30:31], exec
	s_or_saveexec_b64 s[28:29], s[28:29]
	v_mov_b32_e32 v8, s11
	s_xor_b64 exec, exec, s[28:29]
	s_cbranch_execz .LBB0_8
.LBB0_14:
	s_lshl_b32 s11, s20, 2
	v_lshlrev_b32_e32 v7, 3, v3
	v_mov_b32_e32 v1, 0
	v_mov_b32_e32 v8, s11
	s_or_b64 s[4:5], s[4:5], exec
	s_or_b64 exec, exec, s[28:29]
	s_and_b64 exec, exec, s[4:5]
	s_cbranch_execz .LBB0_17
.LBB0_15:
	v_add_u32_e32 v6, v1, v2
	s_movk_i32 s4, 0x380
	v_mul_lo_u32 v9, v6, s4
	v_add3_u32 v9, v9, v7, 0
	v_mul_lo_u32 v6, v6, s20
	s_mov_b64 s[4:5], 0
	v_mov_b32_e32 v7, 0
.LBB0_16:                               ; =>This Inner Loop Header: Depth=1
	v_lshl_add_u64 v[12:13], v[6:7], 3, v[4:5]
	global_load_dwordx2 v[12:13], v[12:13], off
	v_add_u32_e32 v1, 4, v1
	v_add_u32_e32 v11, v10, v1
	v_cmp_le_u32_e32 vcc, s6, v11
	v_add_u32_e32 v6, v6, v8
	s_or_b64 s[4:5], vcc, s[4:5]
	s_waitcnt vmcnt(0)
	ds_write_b64 v9, v[12:13]
	v_add_u32_e32 v9, 0xe00, v9
	s_andn2_b64 exec, exec, s[4:5]
	s_cbranch_execnz .LBB0_16
.LBB0_17:
	s_or_b64 exec, exec, s[26:27]
	s_mov_b64 s[4:5], 0
.LBB0_18:
	s_andn2_b64 vcc, exec, s[4:5]
	s_cbranch_vccnz .LBB0_20
; %bb.19:
	v_mad_u64_u32 v[4:5], s[4:5], s12, v3, 0
	v_mov_b32_e32 v6, v5
	v_mad_u64_u32 v[6:7], s[4:5], s13, v3, v[6:7]
	s_lshl_b64 s[4:5], s[24:25], 3
	s_add_u32 s4, s22, s4
	v_mov_b32_e32 v5, v6
	s_addc_u32 s5, s23, s5
	v_mul_lo_u32 v6, s20, v2
	v_mov_b32_e32 v7, 0
	v_lshl_add_u64 v[4:5], v[4:5], 3, s[4:5]
	s_lshl_b32 s4, s20, 2
	v_lshl_add_u64 v[8:9], v[6:7], 3, v[4:5]
	v_add_u32_e32 v6, s4, v6
	v_lshl_add_u64 v[10:11], v[6:7], 3, v[4:5]
	v_add_u32_e32 v6, s4, v6
	;; [unrolled: 2-line block ×3, first 2 shown]
	v_lshl_add_u64 v[4:5], v[6:7], 3, v[4:5]
	global_load_dwordx2 v[6:7], v[8:9], off
	global_load_dwordx2 v[14:15], v[10:11], off
	;; [unrolled: 1-line block ×4, first 2 shown]
	v_mul_u32_u24_e32 v1, 0x380, v2
	v_lshlrev_b32_e32 v2, 3, v3
	v_add3_u32 v1, 0, v1, v2
	s_waitcnt vmcnt(2)
	ds_write2st64_b64 v1, v[6:7], v[14:15] offset1:7
	s_waitcnt vmcnt(0)
	ds_write2st64_b64 v1, v[16:17], v[18:19] offset0:14 offset1:21
.LBB0_20:
	s_movk_i32 s4, 0x925
	v_mul_u32_u24_sdwa v1, v0, s4 dst_sel:DWORD dst_unused:UNUSED_PAD src0_sel:WORD_0 src1_sel:DWORD
	v_mov_b32_e32 v2, 15
	s_mov_b32 s4, 0x924924a
	v_and_b32_sdwa v1, v1, v2 dst_sel:DWORD dst_unused:UNUSED_PAD src0_sel:WORD_1 src1_sel:DWORD
	v_mul_hi_u32 v2, v0, s4
	v_mul_u32_u24_e32 v2, 28, v2
	v_mul_lo_u16_e32 v1, 0x70, v1
	v_sub_u32_e32 v21, v0, v2
	v_lshlrev_b32_e32 v22, 3, v1
	v_lshlrev_b32_e32 v1, 3, v21
	v_add3_u32 v20, 0, v22, v1
	v_add3_u32 v1, 0, v1, v22
	s_waitcnt lgkmcnt(0)
	s_barrier
	ds_read2_b64 v[2:5], v1 offset0:28 offset1:56
	ds_read_b64 v[6:7], v20
	ds_read_b64 v[8:9], v1 offset:672
	s_load_dwordx2 s[4:5], s[0:1], 0x0
	v_mad_u32_u24 v10, v21, 24, v1
	s_waitcnt lgkmcnt(0)
	v_pk_add_f32 v[4:5], v[6:7], v[4:5] neg_lo:[0,1] neg_hi:[0,1]
	v_pk_add_f32 v[8:9], v[2:3], v[8:9] neg_lo:[0,1] neg_hi:[0,1]
	v_pk_fma_f32 v[6:7], v[6:7], 2.0, v[4:5] op_sel_hi:[1,0,1] neg_lo:[0,0,1] neg_hi:[0,0,1]
	v_pk_fma_f32 v[2:3], v[2:3], 2.0, v[8:9] op_sel_hi:[1,0,1] neg_lo:[0,0,1] neg_hi:[0,0,1]
	s_barrier
	v_pk_add_f32 v[16:17], v[6:7], v[2:3] neg_lo:[0,1] neg_hi:[0,1]
	v_pk_add_f32 v[2:3], v[4:5], v[8:9] op_sel:[0,1] op_sel_hi:[1,0]
	v_pk_fma_f32 v[14:15], v[6:7], 2.0, v[16:17] op_sel_hi:[1,0,1] neg_lo:[0,0,1] neg_hi:[0,0,1]
	v_pk_add_f32 v[6:7], v[4:5], v[8:9] op_sel:[0,1] op_sel_hi:[1,0] neg_lo:[0,1] neg_hi:[0,1]
	s_nop 0
	v_mov_b32_e32 v7, v3
	v_pk_fma_f32 v[18:19], v[4:5], 2.0, v[6:7] op_sel_hi:[1,0,1] neg_lo:[0,0,1] neg_hi:[0,0,1]
	ds_write2_b64 v10, v[14:15], v[18:19] offset1:1
	ds_write2_b64 v10, v[16:17], v[6:7] offset0:2 offset1:3
	v_cmp_gt_u32_e32 vcc, 16, v21
	v_mov_b32_e32 v9, v17
	v_mov_b32_e32 v4, v17
	;; [unrolled: 1-line block ×3, first 2 shown]
	s_waitcnt lgkmcnt(0)
	s_barrier
	s_and_saveexec_b64 s[12:13], vcc
	s_cbranch_execz .LBB0_22
; %bb.21:
	ds_read2_b64 v[6:9], v1 offset0:16 offset1:32
	ds_read2_b64 v[2:5], v1 offset0:48 offset1:64
	ds_read_b64 v[14:15], v20
	ds_read2_b64 v[10:13], v1 offset0:80 offset1:96
	s_waitcnt lgkmcnt(3)
	v_mov_b32_e32 v16, v8
	s_waitcnt lgkmcnt(2)
	v_mov_b32_e32 v17, v5
	v_mov_b32_e32 v19, v7
	;; [unrolled: 1-line block ×4, first 2 shown]
.LBB0_22:
	s_or_b64 exec, exec, s[12:13]
	s_waitcnt lgkmcnt(0)
	s_barrier
	s_and_saveexec_b64 s[12:13], vcc
	s_cbranch_execz .LBB0_24
; %bb.23:
	v_and_b32_e32 v5, 3, v21
	v_mul_u32_u24_e32 v2, 6, v5
	v_lshlrev_b32_e32 v2, 3, v2
	global_load_dwordx4 v[24:27], v2, s[4:5]
	global_load_dwordx4 v[28:31], v2, s[4:5] offset:32
	global_load_dwordx4 v[32:35], v2, s[4:5] offset:16
	v_lshrrev_b32_e32 v7, 2, v21
	v_mul_u32_u24_e32 v7, 28, v7
	v_or_b32_e32 v5, v7, v5
	v_mov_b32_e32 v2, v10
	v_mov_b32_e32 v42, v19
	;; [unrolled: 1-line block ×5, first 2 shown]
	v_lshlrev_b32_e32 v5, 3, v5
	v_mov_b32_e32 v8, v11
	v_mov_b32_e32 v36, v11
	;; [unrolled: 1-line block ×5, first 2 shown]
	v_add3_u32 v39, 0, v5, v22
	v_mov_b32_e32 v41, v4
	s_mov_b32 s22, 0xbf08b237
	s_mov_b32 s23, 0x3eae86e6
	;; [unrolled: 1-line block ×5, first 2 shown]
	s_waitcnt vmcnt(2)
	v_pk_mul_f32 v[18:19], v[18:19], v[24:25] op_sel_hi:[0,1]
	s_waitcnt vmcnt(1)
	v_pk_mul_f32 v[12:13], v[12:13], v[30:31] op_sel_hi:[0,1]
	v_mov_b32_e32 v50, v27
	s_waitcnt vmcnt(0)
	v_mov_b32_e32 v51, v35
	v_mov_b32_e32 v54, v29
	;; [unrolled: 1-line block ×3, first 2 shown]
	v_mul_f32_e32 v43, v9, v27
	v_mul_f32_e32 v45, v11, v29
	v_mov_b32_e32 v53, v32
	v_mul_f32_e32 v5, v6, v33
	v_mul_f32_e32 v7, v3, v32
	;; [unrolled: 1-line block ×4, first 2 shown]
	v_pk_mul_f32 v[32:33], v[16:17], v[50:51]
	v_pk_mul_f32 v[2:3], v[2:3], v[54:55]
	v_fma_f32 v6, v16, v26, -v43
	v_pk_fma_f32 v[16:17], v[44:45], v[30:31], v[12:13] op_sel:[0,0,1] op_sel_hi:[1,1,0]
	v_pk_fma_f32 v[12:13], v[46:47], v[30:31], v[12:13] op_sel:[0,0,1] op_sel_hi:[0,1,0] neg_lo:[1,0,0] neg_hi:[1,0,0]
	v_pk_fma_f32 v[30:31], v[42:43], v[24:25], v[18:19] op_sel:[0,0,1] op_sel_hi:[1,1,0]
	v_pk_fma_f32 v[18:19], v[48:49], v[24:25], v[18:19] op_sel:[0,0,1] op_sel_hi:[0,1,0] neg_lo:[1,0,0] neg_hi:[1,0,0]
	v_mov_b32_e32 v22, v26
	v_mov_b32_e32 v23, v34
	;; [unrolled: 1-line block ×3, first 2 shown]
	v_fma_f32 v4, v10, v28, -v45
	v_pk_fma_f32 v[28:29], v[8:9], v[28:29], v[2:3]
	v_mov_b32_e32 v10, v19
	v_mov_b32_e32 v8, v13
	v_pk_add_f32 v[24:25], v[6:7], v[4:5]
	v_pk_fma_f32 v[2:3], v[36:37], v[52:53], v[2:3] neg_lo:[0,0,1] neg_hi:[0,0,1]
	v_pk_fma_f32 v[26:27], v[38:39], v[26:27], v[32:33]
	v_pk_fma_f32 v[22:23], v[40:41], v[22:23], v[32:33] neg_lo:[0,0,1] neg_hi:[0,0,1]
	v_pk_add_f32 v[8:9], v[10:11], v[8:9]
	v_mov_b32_e32 v17, v13
	v_mov_b32_e32 v31, v19
	;; [unrolled: 1-line block ×8, first 2 shown]
	v_pk_add_f32 v[12:13], v[30:31], v[16:17]
	v_pk_add_f32 v[16:17], v[30:31], v[16:17] neg_lo:[0,1] neg_hi:[0,1]
	v_pk_add_f32 v[18:19], v[26:27], v[28:29]
	v_pk_add_f32 v[4:5], v[4:5], v[6:7] neg_lo:[0,1] neg_hi:[0,1]
	v_mov_b32_e32 v2, v3
	v_mov_b32_e32 v10, v23
	v_pk_add_f32 v[22:23], v[26:27], v[28:29] neg_lo:[0,1] neg_hi:[0,1]
	v_mov_b32_e32 v27, v17
	v_mov_b32_e32 v11, v12
	;; [unrolled: 1-line block ×4, first 2 shown]
	v_pk_add_f32 v[30:31], v[24:25], v[8:9]
	v_pk_add_f32 v[2:3], v[2:3], v[10:11]
	v_pk_add_f32 v[10:11], v[26:27], v[22:23] neg_lo:[0,1] neg_hi:[0,1]
	v_mov_b32_e32 v9, v31
	v_pk_add_f32 v[32:33], v[30:31], v[2:3]
	v_mov_b32_e32 v3, v18
	v_pk_mul_f32 v[10:11], v[10:11], s[22:23]
	s_mov_b32 s22, 0x3f4a47b2
	v_pk_add_f32 v[34:35], v[8:9], v[2:3] neg_lo:[0,1] neg_hi:[0,1]
	s_mov_b32 s23, 0x3d64c772
	v_mov_b32_e32 v3, v12
	v_mov_b32_e32 v25, v31
	v_pk_add_f32 v[2:3], v[2:3], v[24:25] neg_lo:[0,1] neg_hi:[0,1]
	s_mov_b32 s26, s23
	s_mov_b32 s27, s22
	v_mov_b32_e32 v28, v16
	v_mov_b32_e32 v29, v23
	v_pk_mul_f32 v[2:3], v[2:3], s[26:27]
	v_pk_add_f32 v[6:7], v[22:23], v[4:5]
	v_pk_add_f32 v[28:29], v[28:29], v[4:5] neg_lo:[0,1] neg_hi:[0,1]
	v_pk_add_f32 v[14:15], v[14:15], v[32:33]
	v_pk_mul_f32 v[36:37], v[34:35], s[22:23]
	v_pk_fma_f32 v[30:31], v[34:35], s[22:23], v[2:3]
	s_mov_b32 s22, 0xbf955555
	v_pk_add_f32 v[6:7], v[6:7], v[16:17]
	v_pk_mul_f32 v[26:27], v[28:29], s[24:25]
	v_pk_fma_f32 v[32:33], v[32:33], s[22:23], v[14:15] op_sel_hi:[1,0,1]
	v_pk_fma_f32 v[28:29], v[28:29], s[24:25], v[10:11]
	v_pk_add_f32 v[30:31], v[30:31], v[32:33]
	v_pk_fma_f32 v[28:29], v[6:7], s[20:21], v[28:29] op_sel_hi:[1,0,1]
	v_mov_b32_e32 v25, v18
	v_pk_add_f32 v[34:35], v[30:31], v[28:29]
	v_pk_add_f32 v[28:29], v[30:31], v[28:29] neg_lo:[0,1] neg_hi:[0,1]
	v_mov_b32_e32 v30, v34
	v_mov_b32_e32 v31, v29
	;; [unrolled: 1-line block ×3, first 2 shown]
	ds_write2_b64 v39, v[14:15], v[30:31] offset1:4
	v_mov_b32_e32 v23, v5
	v_mov_b32_e32 v14, v36
	;; [unrolled: 1-line block ×3, first 2 shown]
	v_pk_add_f32 v[8:9], v[24:25], v[8:9] neg_lo:[0,1] neg_hi:[0,1]
	s_mov_b32 s24, 0x3f3bfb3b
	v_pk_add_f32 v[4:5], v[22:23], v[16:17] neg_lo:[0,1] neg_hi:[0,1]
	s_mov_b32 s22, 0x3f5ff5aa
	v_pk_fma_f32 v[12:13], v[8:9], s[24:25], v[14:15] op_sel_hi:[1,0,1] neg_lo:[1,0,1] neg_hi:[1,0,1]
	v_mov_b32_e32 v14, v26
	v_mov_b32_e32 v15, v11
	;; [unrolled: 1-line block ×4, first 2 shown]
	v_pk_fma_f32 v[14:15], v[4:5], s[22:23], v[14:15] op_sel_hi:[1,0,1] neg_lo:[1,0,1] neg_hi:[1,0,1]
	v_pk_fma_f32 v[4:5], v[4:5], s[22:23], v[10:11] op_sel_hi:[1,0,1] neg_lo:[0,0,1] neg_hi:[0,0,1]
	;; [unrolled: 1-line block ×3, first 2 shown]
	v_pk_add_f32 v[12:13], v[12:13], v[32:33]
	v_pk_fma_f32 v[14:15], v[6:7], s[20:21], v[14:15] op_sel_hi:[1,0,1]
	v_pk_fma_f32 v[4:5], v[6:7], s[20:21], v[4:5] op_sel_hi:[1,0,1]
	v_pk_add_f32 v[2:3], v[2:3], v[32:33]
	v_pk_add_f32 v[16:17], v[12:13], v[14:15]
	v_pk_add_f32 v[12:13], v[12:13], v[14:15] neg_lo:[0,1] neg_hi:[0,1]
	v_pk_add_f32 v[6:7], v[2:3], v[4:5] neg_lo:[0,1] neg_hi:[0,1]
	v_pk_add_f32 v[2:3], v[2:3], v[4:5]
	v_mov_b32_e32 v14, v16
	v_mov_b32_e32 v15, v13
	;; [unrolled: 1-line block ×7, first 2 shown]
	ds_write2_b64 v39, v[14:15], v[4:5] offset0:8 offset1:12
	ds_write2_b64 v39, v[2:3], v[12:13] offset0:16 offset1:20
	ds_write_b64 v39, v[28:29] offset:192
.LBB0_24:
	s_or_b64 exec, exec, s[12:13]
	v_mul_u32_u24_e32 v2, 3, v21
	v_lshlrev_b32_e32 v2, 3, v2
	s_waitcnt lgkmcnt(0)
	s_barrier
	global_load_dwordx4 v[4:7], v2, s[4:5] offset:192
	global_load_dwordx2 v[12:13], v2, s[4:5] offset:208
	ds_read2_b64 v[8:11], v1 offset0:28 offset1:56
	ds_read_b64 v[14:15], v20
	ds_read_b64 v[16:17], v1 offset:672
	v_and_b32_e32 v2, 15, v0
	v_or_b32_e32 v3, s3, v2
	v_cmp_gt_u32_e32 vcc, s6, v3
	s_or_b64 s[4:5], s[18:19], vcc
	s_waitcnt lgkmcnt(0)
	s_barrier
	s_waitcnt vmcnt(1)
	v_pk_mul_f32 v[18:19], v[4:5], v[8:9] op_sel:[0,1]
	v_pk_mul_f32 v[20:21], v[6:7], v[10:11] op_sel:[0,1]
	s_waitcnt vmcnt(0)
	v_pk_mul_f32 v[22:23], v[12:13], v[16:17] op_sel:[0,1]
	v_pk_fma_f32 v[24:25], v[4:5], v[8:9], v[18:19] op_sel:[0,0,1] op_sel_hi:[1,1,0] neg_lo:[0,0,1] neg_hi:[0,0,1]
	v_pk_fma_f32 v[4:5], v[4:5], v[8:9], v[18:19] op_sel:[0,0,1] op_sel_hi:[1,0,0]
	v_pk_fma_f32 v[8:9], v[6:7], v[10:11], v[20:21] op_sel:[0,0,1] op_sel_hi:[1,1,0] neg_lo:[0,0,1] neg_hi:[0,0,1]
	v_pk_fma_f32 v[6:7], v[6:7], v[10:11], v[20:21] op_sel:[0,0,1] op_sel_hi:[1,0,0]
	;; [unrolled: 2-line block ×3, first 2 shown]
	v_mov_b32_e32 v25, v5
	v_mov_b32_e32 v9, v7
	;; [unrolled: 1-line block ×3, first 2 shown]
	v_pk_add_f32 v[4:5], v[14:15], v[8:9] neg_lo:[0,1] neg_hi:[0,1]
	v_pk_add_f32 v[6:7], v[24:25], v[10:11] neg_lo:[0,1] neg_hi:[0,1]
	v_pk_fma_f32 v[8:9], v[14:15], 2.0, v[4:5] op_sel_hi:[1,0,1] neg_lo:[0,0,1] neg_hi:[0,0,1]
	v_pk_fma_f32 v[10:11], v[24:25], 2.0, v[6:7] op_sel_hi:[1,0,1] neg_lo:[0,0,1] neg_hi:[0,0,1]
	v_pk_add_f32 v[12:13], v[4:5], v[6:7] op_sel:[0,1] op_sel_hi:[1,0] neg_lo:[0,1] neg_hi:[0,1]
	v_pk_add_f32 v[6:7], v[4:5], v[6:7] op_sel:[0,1] op_sel_hi:[1,0]
	v_pk_add_f32 v[10:11], v[8:9], v[10:11] neg_lo:[0,1] neg_hi:[0,1]
	v_mov_b32_e32 v13, v7
	v_pk_fma_f32 v[6:7], v[8:9], 2.0, v[10:11] op_sel_hi:[1,0,1] neg_lo:[0,0,1] neg_hi:[0,0,1]
	v_pk_fma_f32 v[4:5], v[4:5], 2.0, v[12:13] op_sel_hi:[1,0,1] neg_lo:[0,0,1] neg_hi:[0,0,1]
	ds_write2_b64 v1, v[10:11], v[12:13] offset0:56 offset1:84
	ds_write2_b64 v1, v[6:7], v[4:5] offset1:28
	s_waitcnt lgkmcnt(0)
	s_barrier
	s_and_saveexec_b64 s[12:13], s[4:5]
	s_cbranch_execz .LBB0_26
; %bb.25:
	s_mul_i32 s4, s2, s14
	s_mul_i32 s2, s9, s3
	s_mul_hi_u32 s6, s8, s3
	s_load_dwordx2 s[0:1], s[0:1], 0x60
	s_add_i32 s13, s6, s2
	s_mul_i32 s12, s8, s3
	s_mul_i32 s2, s17, s7
	s_mul_hi_u32 s3, s16, s7
	s_add_i32 s3, s3, s2
	s_mul_i32 s2, s16, s7
	v_mad_u64_u32 v[4:5], s[6:7], s8, v2, 0
	v_lshrrev_b32_e32 v3, 4, v0
	v_mov_b32_e32 v0, v5
	v_mad_u64_u32 v[0:1], s[6:7], s9, v2, v[0:1]
	s_lshl_b64 s[6:7], s[12:13], 3
	s_mov_b32 s5, 0
	s_waitcnt lgkmcnt(0)
	s_add_u32 s6, s0, s6
	v_mov_b32_e32 v5, v0
	v_mul_u32_u24_e32 v0, 0x380, v2
	v_lshlrev_b32_e32 v1, 3, v3
	s_addc_u32 s7, s1, s7
	s_lshl_b64 s[0:1], s[4:5], 3
	v_add3_u32 v6, 0, v0, v1
	s_add_u32 s4, s6, s0
	v_mul_lo_u32 v8, v3, s10
	s_addc_u32 s5, s7, s1
	s_lshl_b64 s[0:1], s[2:3], 3
	ds_read2_b64 v[0:3], v6 offset1:28
	s_add_u32 s0, s4, s0
	s_addc_u32 s1, s5, s1
	v_mov_b32_e32 v9, 0
	v_lshl_add_u64 v[10:11], v[4:5], 3, s[0:1]
	v_lshl_add_u64 v[4:5], v[8:9], 3, v[10:11]
	s_waitcnt lgkmcnt(0)
	global_store_dwordx2 v[4:5], v[0:1], off
	ds_read2_b64 v[4:7], v6 offset0:56 offset1:84
	s_mul_i32 s0, s10, 28
	v_add_u32_e32 v8, s0, v8
	v_lshl_add_u64 v[0:1], v[8:9], 3, v[10:11]
	v_add_u32_e32 v8, s0, v8
	global_store_dwordx2 v[0:1], v[2:3], off
	v_lshl_add_u64 v[0:1], v[8:9], 3, v[10:11]
	v_add_u32_e32 v8, s0, v8
	s_waitcnt lgkmcnt(0)
	global_store_dwordx2 v[0:1], v[4:5], off
	v_lshl_add_u64 v[0:1], v[8:9], 3, v[10:11]
	global_store_dwordx2 v[0:1], v[6:7], off
.LBB0_26:
	s_endpgm
	.section	.rodata,"a",@progbits
	.p2align	6, 0x0
	.amdhsa_kernel fft_rtc_fwd_len112_factors_4_7_4_wgs_448_tpt_28_sp_op_CI_CI_sbrc_xy_z_unaligned
		.amdhsa_group_segment_fixed_size 0
		.amdhsa_private_segment_fixed_size 0
		.amdhsa_kernarg_size 104
		.amdhsa_user_sgpr_count 2
		.amdhsa_user_sgpr_dispatch_ptr 0
		.amdhsa_user_sgpr_queue_ptr 0
		.amdhsa_user_sgpr_kernarg_segment_ptr 1
		.amdhsa_user_sgpr_dispatch_id 0
		.amdhsa_user_sgpr_kernarg_preload_length 0
		.amdhsa_user_sgpr_kernarg_preload_offset 0
		.amdhsa_user_sgpr_private_segment_size 0
		.amdhsa_uses_dynamic_stack 0
		.amdhsa_enable_private_segment 0
		.amdhsa_system_sgpr_workgroup_id_x 1
		.amdhsa_system_sgpr_workgroup_id_y 0
		.amdhsa_system_sgpr_workgroup_id_z 0
		.amdhsa_system_sgpr_workgroup_info 0
		.amdhsa_system_vgpr_workitem_id 0
		.amdhsa_next_free_vgpr 56
		.amdhsa_next_free_sgpr 38
		.amdhsa_accum_offset 56
		.amdhsa_reserve_vcc 1
		.amdhsa_float_round_mode_32 0
		.amdhsa_float_round_mode_16_64 0
		.amdhsa_float_denorm_mode_32 3
		.amdhsa_float_denorm_mode_16_64 3
		.amdhsa_dx10_clamp 1
		.amdhsa_ieee_mode 1
		.amdhsa_fp16_overflow 0
		.amdhsa_tg_split 0
		.amdhsa_exception_fp_ieee_invalid_op 0
		.amdhsa_exception_fp_denorm_src 0
		.amdhsa_exception_fp_ieee_div_zero 0
		.amdhsa_exception_fp_ieee_overflow 0
		.amdhsa_exception_fp_ieee_underflow 0
		.amdhsa_exception_fp_ieee_inexact 0
		.amdhsa_exception_int_div_zero 0
	.end_amdhsa_kernel
	.text
.Lfunc_end0:
	.size	fft_rtc_fwd_len112_factors_4_7_4_wgs_448_tpt_28_sp_op_CI_CI_sbrc_xy_z_unaligned, .Lfunc_end0-fft_rtc_fwd_len112_factors_4_7_4_wgs_448_tpt_28_sp_op_CI_CI_sbrc_xy_z_unaligned
                                        ; -- End function
	.section	.AMDGPU.csdata,"",@progbits
; Kernel info:
; codeLenInByte = 3196
; NumSgprs: 44
; NumVgprs: 56
; NumAgprs: 0
; TotalNumVgprs: 56
; ScratchSize: 0
; MemoryBound: 0
; FloatMode: 240
; IeeeMode: 1
; LDSByteSize: 0 bytes/workgroup (compile time only)
; SGPRBlocks: 5
; VGPRBlocks: 6
; NumSGPRsForWavesPerEU: 44
; NumVGPRsForWavesPerEU: 56
; AccumOffset: 56
; Occupancy: 7
; WaveLimiterHint : 1
; COMPUTE_PGM_RSRC2:SCRATCH_EN: 0
; COMPUTE_PGM_RSRC2:USER_SGPR: 2
; COMPUTE_PGM_RSRC2:TRAP_HANDLER: 0
; COMPUTE_PGM_RSRC2:TGID_X_EN: 1
; COMPUTE_PGM_RSRC2:TGID_Y_EN: 0
; COMPUTE_PGM_RSRC2:TGID_Z_EN: 0
; COMPUTE_PGM_RSRC2:TIDIG_COMP_CNT: 0
; COMPUTE_PGM_RSRC3_GFX90A:ACCUM_OFFSET: 13
; COMPUTE_PGM_RSRC3_GFX90A:TG_SPLIT: 0
	.text
	.p2alignl 6, 3212836864
	.fill 256, 4, 3212836864
	.type	__hip_cuid_d81d6adc3d02786e,@object ; @__hip_cuid_d81d6adc3d02786e
	.section	.bss,"aw",@nobits
	.globl	__hip_cuid_d81d6adc3d02786e
__hip_cuid_d81d6adc3d02786e:
	.byte	0                               ; 0x0
	.size	__hip_cuid_d81d6adc3d02786e, 1

	.ident	"AMD clang version 19.0.0git (https://github.com/RadeonOpenCompute/llvm-project roc-6.4.0 25133 c7fe45cf4b819c5991fe208aaa96edf142730f1d)"
	.section	".note.GNU-stack","",@progbits
	.addrsig
	.addrsig_sym __hip_cuid_d81d6adc3d02786e
	.amdgpu_metadata
---
amdhsa.kernels:
  - .agpr_count:     0
    .args:
      - .actual_access:  read_only
        .address_space:  global
        .offset:         0
        .size:           8
        .value_kind:     global_buffer
      - .offset:         8
        .size:           8
        .value_kind:     by_value
      - .actual_access:  read_only
        .address_space:  global
        .offset:         16
        .size:           8
        .value_kind:     global_buffer
      - .actual_access:  read_only
        .address_space:  global
        .offset:         24
        .size:           8
        .value_kind:     global_buffer
      - .actual_access:  read_only
        .address_space:  global
        .offset:         32
        .size:           8
        .value_kind:     global_buffer
      - .offset:         40
        .size:           8
        .value_kind:     by_value
      - .actual_access:  read_only
        .address_space:  global
        .offset:         48
        .size:           8
        .value_kind:     global_buffer
      - .actual_access:  read_only
        .address_space:  global
        .offset:         56
        .size:           8
        .value_kind:     global_buffer
      - .offset:         64
        .size:           4
        .value_kind:     by_value
      - .actual_access:  read_only
        .address_space:  global
        .offset:         72
        .size:           8
        .value_kind:     global_buffer
      - .actual_access:  read_only
        .address_space:  global
        .offset:         80
        .size:           8
        .value_kind:     global_buffer
      - .actual_access:  read_only
        .address_space:  global
        .offset:         88
        .size:           8
        .value_kind:     global_buffer
      - .actual_access:  write_only
        .address_space:  global
        .offset:         96
        .size:           8
        .value_kind:     global_buffer
    .group_segment_fixed_size: 0
    .kernarg_segment_align: 8
    .kernarg_segment_size: 104
    .language:       OpenCL C
    .language_version:
      - 2
      - 0
    .max_flat_workgroup_size: 448
    .name:           fft_rtc_fwd_len112_factors_4_7_4_wgs_448_tpt_28_sp_op_CI_CI_sbrc_xy_z_unaligned
    .private_segment_fixed_size: 0
    .sgpr_count:     44
    .sgpr_spill_count: 0
    .symbol:         fft_rtc_fwd_len112_factors_4_7_4_wgs_448_tpt_28_sp_op_CI_CI_sbrc_xy_z_unaligned.kd
    .uniform_work_group_size: 1
    .uses_dynamic_stack: false
    .vgpr_count:     56
    .vgpr_spill_count: 0
    .wavefront_size: 64
amdhsa.target:   amdgcn-amd-amdhsa--gfx950
amdhsa.version:
  - 1
  - 2
...

	.end_amdgpu_metadata
